;; amdgpu-corpus repo=ROCm/rocFFT kind=compiled arch=gfx906 opt=O3
	.text
	.amdgcn_target "amdgcn-amd-amdhsa--gfx906"
	.amdhsa_code_object_version 6
	.protected	fft_rtc_fwd_len96_factors_8_3_4_wgs_256_tpt_32_dp_ip_CI_sbcc ; -- Begin function fft_rtc_fwd_len96_factors_8_3_4_wgs_256_tpt_32_dp_ip_CI_sbcc
	.globl	fft_rtc_fwd_len96_factors_8_3_4_wgs_256_tpt_32_dp_ip_CI_sbcc
	.p2align	8
	.type	fft_rtc_fwd_len96_factors_8_3_4_wgs_256_tpt_32_dp_ip_CI_sbcc,@function
fft_rtc_fwd_len96_factors_8_3_4_wgs_256_tpt_32_dp_ip_CI_sbcc: ; @fft_rtc_fwd_len96_factors_8_3_4_wgs_256_tpt_32_dp_ip_CI_sbcc
; %bb.0:
	s_load_dwordx4 s[0:3], s[4:5], 0x18
	s_mov_b32 s7, 0
	s_mov_b64 s[22:23], 0
	s_waitcnt lgkmcnt(0)
	s_load_dwordx2 s[16:17], s[0:1], 0x8
	s_waitcnt lgkmcnt(0)
	s_add_u32 s8, s16, -1
	s_addc_u32 s9, s17, -1
	s_lshr_b64 s[8:9], s[8:9], 3
	s_add_u32 s18, s8, 1
	s_addc_u32 s19, s9, 0
	v_mov_b32_e32 v1, s18
	v_mov_b32_e32 v2, s19
	v_cmp_lt_u64_e32 vcc, s[6:7], v[1:2]
	s_cbranch_vccnz .LBB0_2
; %bb.1:
	v_cvt_f32_u32_e32 v1, s18
	s_sub_i32 s8, 0, s18
	s_mov_b32 s23, s7
	v_rcp_iflag_f32_e32 v1, v1
	v_mul_f32_e32 v1, 0x4f7ffffe, v1
	v_cvt_u32_f32_e32 v1, v1
	v_readfirstlane_b32 s9, v1
	s_mul_i32 s8, s8, s9
	s_mul_hi_u32 s8, s9, s8
	s_add_i32 s9, s9, s8
	s_mul_hi_u32 s8, s6, s9
	s_mul_i32 s10, s8, s18
	s_sub_i32 s10, s6, s10
	s_add_i32 s9, s8, 1
	s_sub_i32 s11, s10, s18
	s_cmp_ge_u32 s10, s18
	s_cselect_b32 s8, s9, s8
	s_cselect_b32 s10, s11, s10
	s_add_i32 s9, s8, 1
	s_cmp_ge_u32 s10, s18
	s_cselect_b32 s22, s9, s8
.LBB0_2:
	s_load_dwordx2 s[14:15], s[4:5], 0x0
	s_load_dwordx4 s[8:11], s[2:3], 0x0
	s_mul_i32 s12, s22, s19
	s_mul_hi_u32 s13, s22, s18
	s_add_i32 s13, s13, s12
	s_mul_i32 s12, s22, s18
	s_sub_u32 s24, s6, s12
	s_subb_u32 s25, 0, s13
	v_mov_b32_e32 v1, s24
	v_alignbit_b32 v1, s25, v1, 29
	s_waitcnt lgkmcnt(0)
	v_mul_lo_u32 v1, s10, v1
	s_load_dwordx2 s[12:13], s[4:5], 0x58
	s_load_dwordx2 s[20:21], s[4:5], 0x10
	s_lshl_b64 s[4:5], s[24:25], 3
	s_mul_hi_u32 s24, s10, s4
	v_add_u32_e32 v1, s24, v1
	s_mul_i32 s24, s11, s4
	v_add_u32_e32 v3, s24, v1
	s_waitcnt lgkmcnt(0)
	v_cmp_lt_u64_e64 s[24:25], s[20:21], 3
	s_mul_i32 s26, s10, s4
	v_mov_b32_e32 v4, s26
	s_and_b64 vcc, exec, s[24:25]
	s_cbranch_vccnz .LBB0_11
; %bb.3:
	s_add_u32 s24, s2, 16
	s_addc_u32 s25, s3, 0
	s_add_u32 s26, s0, 16
	v_mov_b32_e32 v1, s20
	s_addc_u32 s27, s1, 0
	s_mov_b64 s[28:29], 2
	s_mov_b32 s30, 0
	v_mov_b32_e32 v2, s21
	s_branch .LBB0_5
.LBB0_4:                                ;   in Loop: Header=BB0_5 Depth=1
	s_mul_i32 s19, s34, s19
	s_mul_hi_u32 s31, s34, s18
	s_add_i32 s19, s31, s19
	s_mul_i32 s31, s35, s18
	s_add_i32 s19, s19, s31
	s_mul_i32 s31, s0, s35
	s_mul_hi_u32 s33, s0, s34
	s_load_dwordx2 s[36:37], s[24:25], 0x0
	s_add_i32 s31, s33, s31
	s_mul_i32 s33, s1, s34
	s_add_i32 s31, s31, s33
	s_mul_i32 s33, s0, s34
	s_sub_u32 s22, s22, s33
	s_subb_u32 s23, s23, s31
	s_waitcnt lgkmcnt(0)
	s_mul_i32 s23, s36, s23
	s_mul_hi_u32 s31, s36, s22
	s_add_i32 s23, s31, s23
	s_mul_i32 s31, s37, s22
	s_add_i32 s23, s23, s31
	s_mul_i32 s22, s36, s22
	s_add_u32 s28, s28, 1
	v_mov_b32_e32 v5, s23
	v_add_co_u32_e32 v4, vcc, s22, v4
	s_addc_u32 s29, s29, 0
	v_addc_co_u32_e32 v3, vcc, v5, v3, vcc
	s_add_u32 s24, s24, 8
	s_addc_u32 s25, s25, 0
	v_cmp_ge_u64_e32 vcc, s[28:29], v[1:2]
	s_add_u32 s26, s26, 8
	s_mul_i32 s18, s34, s18
	s_addc_u32 s27, s27, 0
	s_mov_b64 s[22:23], s[0:1]
	s_cbranch_vccnz .LBB0_9
.LBB0_5:                                ; =>This Inner Loop Header: Depth=1
	s_load_dwordx2 s[34:35], s[26:27], 0x0
	s_waitcnt lgkmcnt(0)
	s_or_b64 s[0:1], s[22:23], s[34:35]
	s_mov_b32 s31, s1
	s_cmp_lg_u64 s[30:31], 0
	s_cbranch_scc0 .LBB0_7
; %bb.6:                                ;   in Loop: Header=BB0_5 Depth=1
	v_cvt_f32_u32_e32 v5, s34
	v_cvt_f32_u32_e32 v6, s35
	s_sub_u32 s0, 0, s34
	s_subb_u32 s1, 0, s35
	v_mac_f32_e32 v5, 0x4f800000, v6
	v_rcp_f32_e32 v5, v5
	v_mul_f32_e32 v5, 0x5f7ffffc, v5
	v_mul_f32_e32 v6, 0x2f800000, v5
	v_trunc_f32_e32 v6, v6
	v_mac_f32_e32 v5, 0xcf800000, v6
	v_cvt_u32_f32_e32 v6, v6
	v_cvt_u32_f32_e32 v5, v5
	v_readfirstlane_b32 s31, v6
	v_readfirstlane_b32 s33, v5
	s_mul_i32 s36, s0, s31
	s_mul_hi_u32 s38, s0, s33
	s_mul_i32 s37, s1, s33
	s_add_i32 s36, s38, s36
	s_mul_i32 s39, s0, s33
	s_add_i32 s36, s36, s37
	s_mul_hi_u32 s37, s33, s36
	s_mul_i32 s38, s33, s36
	s_mul_hi_u32 s33, s33, s39
	s_add_u32 s33, s33, s38
	s_addc_u32 s37, 0, s37
	s_mul_hi_u32 s40, s31, s39
	s_mul_i32 s39, s31, s39
	s_add_u32 s33, s33, s39
	s_mul_hi_u32 s38, s31, s36
	s_addc_u32 s33, s37, s40
	s_addc_u32 s37, s38, 0
	s_mul_i32 s36, s31, s36
	s_add_u32 s33, s33, s36
	s_addc_u32 s36, 0, s37
	v_add_co_u32_e32 v5, vcc, s33, v5
	s_cmp_lg_u64 vcc, 0
	s_addc_u32 s31, s31, s36
	v_readfirstlane_b32 s36, v5
	s_mul_i32 s33, s0, s31
	s_mul_hi_u32 s37, s0, s36
	s_add_i32 s33, s37, s33
	s_mul_i32 s1, s1, s36
	s_add_i32 s33, s33, s1
	s_mul_i32 s0, s0, s36
	s_mul_hi_u32 s37, s31, s0
	s_mul_i32 s38, s31, s0
	s_mul_i32 s40, s36, s33
	s_mul_hi_u32 s0, s36, s0
	s_mul_hi_u32 s39, s36, s33
	s_add_u32 s0, s0, s40
	s_addc_u32 s36, 0, s39
	s_add_u32 s0, s0, s38
	s_mul_hi_u32 s1, s31, s33
	s_addc_u32 s0, s36, s37
	s_addc_u32 s1, s1, 0
	s_mul_i32 s33, s31, s33
	s_add_u32 s0, s0, s33
	s_addc_u32 s1, 0, s1
	v_add_co_u32_e32 v5, vcc, s0, v5
	s_cmp_lg_u64 vcc, 0
	s_addc_u32 s0, s31, s1
	v_readfirstlane_b32 s33, v5
	s_mul_i32 s31, s22, s0
	s_mul_hi_u32 s36, s22, s33
	s_mul_hi_u32 s1, s22, s0
	s_add_u32 s31, s36, s31
	s_addc_u32 s1, 0, s1
	s_mul_hi_u32 s37, s23, s33
	s_mul_i32 s33, s23, s33
	s_add_u32 s31, s31, s33
	s_mul_hi_u32 s36, s23, s0
	s_addc_u32 s1, s1, s37
	s_addc_u32 s31, s36, 0
	s_mul_i32 s0, s23, s0
	s_add_u32 s33, s1, s0
	s_addc_u32 s31, 0, s31
	s_mul_i32 s0, s34, s31
	s_mul_hi_u32 s1, s34, s33
	s_add_i32 s0, s1, s0
	s_mul_i32 s1, s35, s33
	s_add_i32 s36, s0, s1
	s_mul_i32 s1, s34, s33
	v_mov_b32_e32 v5, s1
	s_sub_i32 s0, s23, s36
	v_sub_co_u32_e32 v5, vcc, s22, v5
	s_cmp_lg_u64 vcc, 0
	s_subb_u32 s37, s0, s35
	v_subrev_co_u32_e64 v6, s[0:1], s34, v5
	s_cmp_lg_u64 s[0:1], 0
	s_subb_u32 s0, s37, 0
	s_cmp_ge_u32 s0, s35
	v_readfirstlane_b32 s37, v6
	s_cselect_b32 s1, -1, 0
	s_cmp_ge_u32 s37, s34
	s_cselect_b32 s37, -1, 0
	s_cmp_eq_u32 s0, s35
	s_cselect_b32 s0, s37, s1
	s_add_u32 s1, s33, 1
	s_addc_u32 s37, s31, 0
	s_add_u32 s38, s33, 2
	s_addc_u32 s39, s31, 0
	s_cmp_lg_u32 s0, 0
	s_cselect_b32 s0, s38, s1
	s_cselect_b32 s1, s39, s37
	s_cmp_lg_u64 vcc, 0
	s_subb_u32 s36, s23, s36
	s_cmp_ge_u32 s36, s35
	v_readfirstlane_b32 s38, v5
	s_cselect_b32 s37, -1, 0
	s_cmp_ge_u32 s38, s34
	s_cselect_b32 s38, -1, 0
	s_cmp_eq_u32 s36, s35
	s_cselect_b32 s36, s38, s37
	s_cmp_lg_u32 s36, 0
	s_cselect_b32 s1, s1, s31
	s_cselect_b32 s0, s0, s33
	s_cbranch_execnz .LBB0_4
	s_branch .LBB0_8
.LBB0_7:                                ;   in Loop: Header=BB0_5 Depth=1
                                        ; implicit-def: $sgpr0_sgpr1
.LBB0_8:                                ;   in Loop: Header=BB0_5 Depth=1
	v_cvt_f32_u32_e32 v5, s34
	s_sub_i32 s0, 0, s34
	v_rcp_iflag_f32_e32 v5, v5
	v_mul_f32_e32 v5, 0x4f7ffffe, v5
	v_cvt_u32_f32_e32 v5, v5
	v_readfirstlane_b32 s1, v5
	s_mul_i32 s0, s0, s1
	s_mul_hi_u32 s0, s1, s0
	s_add_i32 s1, s1, s0
	s_mul_hi_u32 s0, s22, s1
	s_mul_i32 s31, s0, s34
	s_sub_i32 s31, s22, s31
	s_add_i32 s1, s0, 1
	s_sub_i32 s33, s31, s34
	s_cmp_ge_u32 s31, s34
	s_cselect_b32 s0, s1, s0
	s_cselect_b32 s31, s33, s31
	s_add_i32 s1, s0, 1
	s_cmp_ge_u32 s31, s34
	s_cselect_b32 s0, s1, s0
	s_mov_b32 s1, s30
	s_branch .LBB0_4
.LBB0_9:
	v_mov_b32_e32 v1, s18
	v_mov_b32_e32 v2, s19
	v_cmp_lt_u64_e32 vcc, s[6:7], v[1:2]
	s_mov_b64 s[22:23], 0
	s_cbranch_vccnz .LBB0_11
; %bb.10:
	v_cvt_f32_u32_e32 v1, s18
	s_sub_i32 s0, 0, s18
	v_rcp_iflag_f32_e32 v1, v1
	v_mul_f32_e32 v1, 0x4f7ffffe, v1
	v_cvt_u32_f32_e32 v1, v1
	v_readfirstlane_b32 s1, v1
	s_mul_i32 s0, s0, s1
	s_mul_hi_u32 s0, s1, s0
	s_add_i32 s1, s1, s0
	s_mul_hi_u32 s0, s6, s1
	s_mul_i32 s7, s0, s18
	s_sub_i32 s6, s6, s7
	s_add_i32 s1, s0, 1
	s_sub_i32 s7, s6, s18
	s_cmp_ge_u32 s6, s18
	s_cselect_b32 s0, s1, s0
	s_cselect_b32 s6, s7, s6
	s_add_i32 s1, s0, 1
	s_cmp_ge_u32 s6, s18
	s_cselect_b32 s22, s1, s0
.LBB0_11:
	s_lshl_b64 s[0:1], s[20:21], 3
	s_add_u32 s0, s2, s0
	s_addc_u32 s1, s3, s1
	s_load_dwordx2 s[0:1], s[0:1], 0x0
	v_and_b32_e32 v52, 7, v0
	v_lshrrev_b32_e32 v54, 3, v0
	v_lshlrev_b32_e32 v53, 4, v54
	v_add_u32_e32 v51, 32, v54
	s_waitcnt lgkmcnt(0)
	s_mul_i32 s1, s1, s22
	s_mul_hi_u32 s2, s0, s22
	s_mul_i32 s0, s0, s22
	s_add_i32 s1, s2, s1
	v_mov_b32_e32 v2, s1
	v_add_co_u32_e32 v1, vcc, s0, v4
	v_addc_co_u32_e32 v2, vcc, v2, v3, vcc
	s_add_u32 s0, s4, 8
	v_mov_b32_e32 v3, s16
	s_addc_u32 s1, s5, 0
	v_mov_b32_e32 v4, s17
	v_cmp_le_u64_e32 vcc, s[0:1], v[3:4]
	v_or_b32_e32 v3, s4, v52
	v_mov_b32_e32 v4, s5
	v_cmp_gt_u64_e64 s[0:1], s[16:17], v[3:4]
	v_lshlrev_b64 v[24:25], 4, v[1:2]
	s_or_b64 s[0:1], vcc, s[0:1]
	v_add_u32_e32 v50, 64, v54
	s_and_saveexec_b64 s[2:3], s[0:1]
	s_cbranch_execz .LBB0_13
; %bb.12:
	v_mad_u64_u32 v[1:2], s[4:5], s10, v52, 0
	v_mad_u64_u32 v[3:4], s[4:5], s8, v54, 0
	v_mad_u64_u32 v[9:10], s[4:5], s8, v50, 0
	v_mad_u64_u32 v[5:6], s[4:5], s11, v52, v[2:3]
	v_mov_b32_e32 v2, v4
	v_mad_u64_u32 v[6:7], s[4:5], s9, v54, v[2:3]
	v_mov_b32_e32 v2, v5
	v_mov_b32_e32 v5, s13
	v_add_co_u32_e32 v7, vcc, s12, v24
	v_mov_b32_e32 v4, v6
	v_addc_co_u32_e32 v8, vcc, v5, v25, vcc
	v_mad_u64_u32 v[5:6], s[4:5], s8, v51, 0
	v_lshlrev_b64 v[1:2], 4, v[1:2]
	v_add_co_u32_e32 v15, vcc, v7, v1
	v_addc_co_u32_e32 v16, vcc, v8, v2, vcc
	v_lshlrev_b64 v[1:2], 4, v[3:4]
	v_mov_b32_e32 v3, v6
	v_mad_u64_u32 v[3:4], s[4:5], s9, v51, v[3:4]
	v_add_co_u32_e32 v11, vcc, v15, v1
	v_mov_b32_e32 v6, v3
	v_mov_b32_e32 v3, v10
	v_mad_u64_u32 v[3:4], s[4:5], s9, v50, v[3:4]
	v_addc_co_u32_e32 v12, vcc, v16, v2, vcc
	v_lshlrev_b64 v[1:2], 4, v[5:6]
	v_mov_b32_e32 v10, v3
	v_add_co_u32_e32 v13, vcc, v15, v1
	v_lshlrev_b64 v[9:10], 4, v[9:10]
	v_addc_co_u32_e32 v14, vcc, v16, v2, vcc
	global_load_dwordx4 v[1:4], v[11:12], off
	global_load_dwordx4 v[5:8], v[13:14], off
	v_add_co_u32_e32 v9, vcc, v15, v9
	v_addc_co_u32_e32 v10, vcc, v16, v10, vcc
	global_load_dwordx4 v[9:12], v[9:10], off
	v_mul_u32_u24_e32 v13, 0x600, v52
	v_add3_u32 v13, 0, v13, v53
	s_waitcnt vmcnt(2)
	ds_write_b128 v13, v[1:4]
	s_waitcnt vmcnt(1)
	ds_write_b128 v13, v[5:8] offset:512
	s_waitcnt vmcnt(0)
	ds_write_b128 v13, v[9:12] offset:1024
.LBB0_13:
	s_or_b64 exec, exec, s[2:3]
	v_bfe_u32 v1, v0, 5, 3
	v_and_b32_e32 v57, 31, v0
	v_mul_u32_u24_e32 v1, 0x60, v1
	v_lshlrev_b32_e32 v0, 4, v57
	v_lshlrev_b32_e32 v58, 4, v1
	v_add_u32_e32 v59, 0, v0
	v_add_u32_e32 v56, v59, v58
	s_waitcnt lgkmcnt(0)
	s_barrier
	v_add3_u32 v55, 0, v58, v0
	ds_read_b128 v[0:3], v56 offset:768
	ds_read_b128 v[12:15], v55
	ds_read_b128 v[8:11], v56 offset:192
	ds_read_b128 v[4:7], v56 offset:1152
	;; [unrolled: 1-line block ×4, first 2 shown]
	s_waitcnt lgkmcnt(4)
	v_add_f64 v[26:27], v[12:13], -v[0:1]
	v_add_f64 v[28:29], v[14:15], -v[2:3]
	ds_read_b128 v[20:23], v56 offset:576
	ds_read_b128 v[0:3], v56 offset:1344
	s_waitcnt lgkmcnt(3)
	v_add_f64 v[30:31], v[8:9], -v[30:31]
	s_waitcnt lgkmcnt(2)
	v_add_f64 v[34:35], v[16:17], -v[4:5]
	v_add_f64 v[48:49], v[18:19], -v[6:7]
	v_add_f64 v[32:33], v[10:11], -v[32:33]
	s_waitcnt lgkmcnt(0)
	v_add_f64 v[40:41], v[22:23], -v[2:3]
	v_add_f64 v[38:39], v[20:21], -v[0:1]
	s_mov_b32 s4, 0x667f3bcd
	s_mov_b32 s5, 0x3fe6a09e
	;; [unrolled: 1-line block ×3, first 2 shown]
	v_add_f64 v[44:45], v[28:29], v[34:35]
	v_add_f64 v[36:37], v[26:27], -v[48:49]
	s_mov_b32 s6, s4
	v_add_f64 v[42:43], v[30:31], -v[40:41]
	v_add_f64 v[46:47], v[32:33], v[38:39]
	v_cmp_gt_u32_e32 vcc, 12, v57
	s_barrier
	v_fma_f64 v[0:1], v[42:43], s[4:5], v[36:37]
	v_fma_f64 v[2:3], v[46:47], s[4:5], v[44:45]
	;; [unrolled: 1-line block ×4, first 2 shown]
	v_fma_f64 v[0:1], v[36:37], 2.0, -v[4:5]
	v_fma_f64 v[2:3], v[44:45], 2.0, -v[6:7]
	s_and_saveexec_b64 s[2:3], vcc
	s_cbranch_execz .LBB0_15
; %bb.14:
	v_fma_f64 v[14:15], v[14:15], 2.0, -v[28:29]
	v_fma_f64 v[18:19], v[18:19], 2.0, -v[48:49]
	v_fma_f64 v[8:9], v[8:9], 2.0, -v[30:31]
	v_fma_f64 v[12:13], v[12:13], 2.0, -v[26:27]
	v_fma_f64 v[10:11], v[10:11], 2.0, -v[32:33]
	v_fma_f64 v[22:23], v[22:23], 2.0, -v[40:41]
	v_fma_f64 v[16:17], v[16:17], 2.0, -v[34:35]
	v_fma_f64 v[20:21], v[20:21], 2.0, -v[38:39]
	v_fma_f64 v[28:29], v[28:29], 2.0, -v[44:45]
	v_fma_f64 v[32:33], v[32:33], 2.0, -v[46:47]
	v_fma_f64 v[30:31], v[30:31], 2.0, -v[42:43]
	v_fma_f64 v[26:27], v[26:27], 2.0, -v[36:37]
	v_add_f64 v[34:35], v[14:15], -v[18:19]
	v_add_f64 v[18:19], v[10:11], -v[22:23]
	;; [unrolled: 1-line block ×4, first 2 shown]
	v_fma_f64 v[20:21], v[32:33], s[6:7], v[28:29]
	v_fma_f64 v[22:23], v[30:31], s[6:7], v[26:27]
	v_fma_f64 v[38:39], v[14:15], 2.0, -v[34:35]
	v_fma_f64 v[40:41], v[10:11], 2.0, -v[18:19]
	;; [unrolled: 1-line block ×4, first 2 shown]
	v_add_f64 v[10:11], v[34:35], v[16:17]
	v_fma_f64 v[14:15], v[30:31], s[4:5], v[20:21]
	v_add_f64 v[8:9], v[36:37], -v[18:19]
	v_fma_f64 v[12:13], v[32:33], s[6:7], v[22:23]
	v_add_f64 v[18:19], v[38:39], -v[40:41]
	v_add_f64 v[16:17], v[42:43], -v[44:45]
	v_fma_f64 v[22:23], v[34:35], 2.0, -v[10:11]
	v_fma_f64 v[28:29], v[28:29], 2.0, -v[14:15]
	;; [unrolled: 1-line block ×4, first 2 shown]
	v_mul_u32_u24_e32 v34, 0x70, v57
	v_fma_f64 v[32:33], v[38:39], 2.0, -v[18:19]
	v_add3_u32 v34, v59, v34, v58
	v_fma_f64 v[30:31], v[42:43], 2.0, -v[16:17]
	ds_write_b128 v34, v[0:3] offset:48
	ds_write_b128 v34, v[26:29] offset:16
	;; [unrolled: 1-line block ×4, first 2 shown]
	ds_write_b128 v34, v[30:33]
	ds_write_b128 v34, v[12:15] offset:80
	ds_write_b128 v34, v[8:11] offset:96
	;; [unrolled: 1-line block ×3, first 2 shown]
.LBB0_15:
	s_or_b64 exec, exec, s[2:3]
	v_lshlrev_b32_e32 v12, 5, v52
	s_waitcnt lgkmcnt(0)
	s_barrier
	global_load_dwordx4 v[4:7], v12, s[14:15]
	global_load_dwordx4 v[8:11], v12, s[14:15] offset:16
	ds_read_b128 v[12:15], v56 offset:512
	ds_read_b128 v[16:19], v56 offset:1024
	s_mov_b32 s2, 0xe8584caa
	s_mov_b32 s3, 0x3febb67a
	;; [unrolled: 1-line block ×4, first 2 shown]
	v_lshrrev_b32_e32 v28, 3, v57
	v_cmp_gt_u32_e32 vcc, 24, v57
	s_waitcnt vmcnt(1) lgkmcnt(1)
	v_mul_f64 v[20:21], v[14:15], v[6:7]
	s_waitcnt vmcnt(0) lgkmcnt(0)
	v_mul_f64 v[22:23], v[18:19], v[10:11]
	v_mul_f64 v[6:7], v[12:13], v[6:7]
	;; [unrolled: 1-line block ×3, first 2 shown]
	v_fma_f64 v[12:13], v[12:13], v[4:5], -v[20:21]
	v_fma_f64 v[16:17], v[16:17], v[8:9], -v[22:23]
	v_fma_f64 v[14:15], v[14:15], v[4:5], v[6:7]
	v_fma_f64 v[8:9], v[18:19], v[8:9], v[10:11]
	ds_read_b128 v[4:7], v55
	s_waitcnt lgkmcnt(0)
	s_barrier
	v_add_f64 v[10:11], v[12:13], v[16:17]
	v_add_f64 v[20:21], v[4:5], v[12:13]
	v_add_f64 v[18:19], v[14:15], v[8:9]
	v_add_f64 v[22:23], v[14:15], -v[8:9]
	v_add_f64 v[14:15], v[6:7], v[14:15]
	v_add_f64 v[26:27], v[12:13], -v[16:17]
	v_fma_f64 v[10:11], v[10:11], -0.5, v[4:5]
	v_add_f64 v[4:5], v[20:21], v[16:17]
	v_fma_f64 v[18:19], v[18:19], -0.5, v[6:7]
	v_mul_u32_u24_e32 v16, 24, v28
	v_add_f64 v[6:7], v[14:15], v[8:9]
	v_or_b32_e32 v16, v16, v52
	v_lshlrev_b32_e32 v16, 4, v16
	v_add3_u32 v16, 0, v16, v58
	v_fma_f64 v[8:9], v[22:23], s[2:3], v[10:11]
	v_fma_f64 v[12:13], v[22:23], s[4:5], v[10:11]
	;; [unrolled: 1-line block ×4, first 2 shown]
	ds_write_b128 v16, v[4:7]
	ds_write_b128 v16, v[8:11] offset:128
	ds_write_b128 v16, v[12:15] offset:256
	s_waitcnt lgkmcnt(0)
	s_barrier
	s_and_saveexec_b64 s[2:3], vcc
	s_cbranch_execz .LBB0_17
; %bb.16:
	ds_read_b128 v[4:7], v55
	ds_read_b128 v[8:11], v56 offset:384
	ds_read_b128 v[12:15], v56 offset:768
	;; [unrolled: 1-line block ×3, first 2 shown]
.LBB0_17:
	s_or_b64 exec, exec, s[2:3]
	s_waitcnt lgkmcnt(0)
	s_barrier
	s_and_saveexec_b64 s[2:3], vcc
	s_cbranch_execz .LBB0_19
; %bb.18:
	v_subrev_u32_e32 v16, 24, v57
	v_cndmask_b32_e32 v16, v16, v57, vcc
	v_mul_i32_i24_e32 v16, 3, v16
	v_mov_b32_e32 v17, 0
	v_lshlrev_b64 v[16:17], 4, v[16:17]
	v_mov_b32_e32 v18, s15
	v_add_co_u32_e32 v30, vcc, s14, v16
	v_addc_co_u32_e32 v31, vcc, v18, v17, vcc
	global_load_dwordx4 v[16:19], v[30:31], off offset:272
	global_load_dwordx4 v[20:23], v[30:31], off offset:256
	;; [unrolled: 1-line block ×3, first 2 shown]
	s_waitcnt vmcnt(2)
	v_mul_f64 v[30:31], v[12:13], v[18:19]
	s_waitcnt vmcnt(1)
	v_mul_f64 v[32:33], v[10:11], v[22:23]
	v_mul_f64 v[22:23], v[8:9], v[22:23]
	s_waitcnt vmcnt(0)
	v_mul_f64 v[34:35], v[0:1], v[28:29]
	v_mul_f64 v[18:19], v[14:15], v[18:19]
	;; [unrolled: 1-line block ×3, first 2 shown]
	v_fma_f64 v[14:15], v[14:15], v[16:17], v[30:31]
	v_fma_f64 v[8:9], v[8:9], v[20:21], -v[32:33]
	v_fma_f64 v[10:11], v[10:11], v[20:21], v[22:23]
	v_fma_f64 v[2:3], v[2:3], v[26:27], v[34:35]
	v_fma_f64 v[12:13], v[12:13], v[16:17], -v[18:19]
	v_fma_f64 v[0:1], v[0:1], v[26:27], -v[28:29]
	v_add_f64 v[14:15], v[6:7], -v[14:15]
	v_add_f64 v[16:17], v[10:11], -v[2:3]
	;; [unrolled: 1-line block ×4, first 2 shown]
	v_fma_f64 v[18:19], v[6:7], 2.0, -v[14:15]
	v_fma_f64 v[6:7], v[10:11], 2.0, -v[16:17]
	;; [unrolled: 1-line block ×4, first 2 shown]
	v_add_f64 v[2:3], v[14:15], v[0:1]
	v_add_f64 v[0:1], v[12:13], -v[16:17]
	v_add_f64 v[6:7], v[18:19], -v[6:7]
	;; [unrolled: 1-line block ×3, first 2 shown]
	v_fma_f64 v[10:11], v[14:15], 2.0, -v[2:3]
	v_fma_f64 v[8:9], v[12:13], 2.0, -v[0:1]
	;; [unrolled: 1-line block ×4, first 2 shown]
	ds_write_b128 v56, v[8:11] offset:384
	ds_write_b128 v56, v[4:7] offset:768
	ds_write_b128 v55, v[12:15]
	ds_write_b128 v56, v[0:3] offset:1152
.LBB0_19:
	s_or_b64 exec, exec, s[2:3]
	s_waitcnt lgkmcnt(0)
	s_barrier
	s_and_saveexec_b64 s[2:3], s[0:1]
	s_cbranch_execz .LBB0_21
; %bb.20:
	v_mad_u64_u32 v[0:1], s[0:1], s10, v52, 0
	v_mad_u64_u32 v[2:3], s[0:1], s8, v54, 0
	;; [unrolled: 1-line block ×4, first 2 shown]
	v_mov_b32_e32 v1, v3
	v_mad_u64_u32 v[5:6], s[0:1], s9, v54, v[1:2]
	v_mov_b32_e32 v1, v4
	v_mul_u32_u24_e32 v4, 0x600, v52
	v_mov_b32_e32 v3, v5
	v_add3_u32 v15, 0, v4, v53
	v_mov_b32_e32 v4, s13
	v_add_co_u32_e32 v5, vcc, s12, v24
	v_lshlrev_b64 v[0:1], 4, v[0:1]
	v_addc_co_u32_e32 v4, vcc, v4, v25, vcc
	v_add_co_u32_e32 v16, vcc, v5, v0
	v_addc_co_u32_e32 v17, vcc, v4, v1, vcc
	v_lshlrev_b64 v[0:1], 4, v[2:3]
	v_mov_b32_e32 v4, v9
	v_add_co_u32_e32 v10, vcc, v16, v0
	v_addc_co_u32_e32 v11, vcc, v17, v1, vcc
	ds_read_b128 v[0:3], v15
	v_mad_u64_u32 v[12:13], s[0:1], s9, v51, v[4:5]
	ds_read_b128 v[4:7], v15 offset:512
	v_mad_u64_u32 v[13:14], s[0:1], s8, v50, 0
	s_waitcnt lgkmcnt(1)
	global_store_dwordx4 v[10:11], v[0:3], off
	v_mov_b32_e32 v9, v12
	v_mov_b32_e32 v2, v14
	v_lshlrev_b64 v[0:1], 4, v[8:9]
	v_mad_u64_u32 v[2:3], s[0:1], s9, v50, v[2:3]
	v_add_co_u32_e32 v0, vcc, v16, v0
	v_addc_co_u32_e32 v1, vcc, v17, v1, vcc
	s_waitcnt lgkmcnt(0)
	global_store_dwordx4 v[0:1], v[4:7], off
	v_mov_b32_e32 v14, v2
	ds_read_b128 v[0:3], v15 offset:1024
	v_lshlrev_b64 v[4:5], 4, v[13:14]
	v_add_co_u32_e32 v4, vcc, v16, v4
	v_addc_co_u32_e32 v5, vcc, v17, v5, vcc
	s_waitcnt lgkmcnt(0)
	global_store_dwordx4 v[4:5], v[0:3], off
.LBB0_21:
	s_endpgm
	.section	.rodata,"a",@progbits
	.p2align	6, 0x0
	.amdhsa_kernel fft_rtc_fwd_len96_factors_8_3_4_wgs_256_tpt_32_dp_ip_CI_sbcc
		.amdhsa_group_segment_fixed_size 0
		.amdhsa_private_segment_fixed_size 0
		.amdhsa_kernarg_size 96
		.amdhsa_user_sgpr_count 6
		.amdhsa_user_sgpr_private_segment_buffer 1
		.amdhsa_user_sgpr_dispatch_ptr 0
		.amdhsa_user_sgpr_queue_ptr 0
		.amdhsa_user_sgpr_kernarg_segment_ptr 1
		.amdhsa_user_sgpr_dispatch_id 0
		.amdhsa_user_sgpr_flat_scratch_init 0
		.amdhsa_user_sgpr_private_segment_size 0
		.amdhsa_uses_dynamic_stack 0
		.amdhsa_system_sgpr_private_segment_wavefront_offset 0
		.amdhsa_system_sgpr_workgroup_id_x 1
		.amdhsa_system_sgpr_workgroup_id_y 0
		.amdhsa_system_sgpr_workgroup_id_z 0
		.amdhsa_system_sgpr_workgroup_info 0
		.amdhsa_system_vgpr_workitem_id 0
		.amdhsa_next_free_vgpr 60
		.amdhsa_next_free_sgpr 41
		.amdhsa_reserve_vcc 1
		.amdhsa_reserve_flat_scratch 0
		.amdhsa_float_round_mode_32 0
		.amdhsa_float_round_mode_16_64 0
		.amdhsa_float_denorm_mode_32 3
		.amdhsa_float_denorm_mode_16_64 3
		.amdhsa_dx10_clamp 1
		.amdhsa_ieee_mode 1
		.amdhsa_fp16_overflow 0
		.amdhsa_exception_fp_ieee_invalid_op 0
		.amdhsa_exception_fp_denorm_src 0
		.amdhsa_exception_fp_ieee_div_zero 0
		.amdhsa_exception_fp_ieee_overflow 0
		.amdhsa_exception_fp_ieee_underflow 0
		.amdhsa_exception_fp_ieee_inexact 0
		.amdhsa_exception_int_div_zero 0
	.end_amdhsa_kernel
	.text
.Lfunc_end0:
	.size	fft_rtc_fwd_len96_factors_8_3_4_wgs_256_tpt_32_dp_ip_CI_sbcc, .Lfunc_end0-fft_rtc_fwd_len96_factors_8_3_4_wgs_256_tpt_32_dp_ip_CI_sbcc
                                        ; -- End function
	.section	.AMDGPU.csdata,"",@progbits
; Kernel info:
; codeLenInByte = 3216
; NumSgprs: 45
; NumVgprs: 60
; ScratchSize: 0
; MemoryBound: 0
; FloatMode: 240
; IeeeMode: 1
; LDSByteSize: 0 bytes/workgroup (compile time only)
; SGPRBlocks: 5
; VGPRBlocks: 14
; NumSGPRsForWavesPerEU: 45
; NumVGPRsForWavesPerEU: 60
; Occupancy: 4
; WaveLimiterHint : 1
; COMPUTE_PGM_RSRC2:SCRATCH_EN: 0
; COMPUTE_PGM_RSRC2:USER_SGPR: 6
; COMPUTE_PGM_RSRC2:TRAP_HANDLER: 0
; COMPUTE_PGM_RSRC2:TGID_X_EN: 1
; COMPUTE_PGM_RSRC2:TGID_Y_EN: 0
; COMPUTE_PGM_RSRC2:TGID_Z_EN: 0
; COMPUTE_PGM_RSRC2:TIDIG_COMP_CNT: 0
	.type	__hip_cuid_3a257b8079658a1,@object ; @__hip_cuid_3a257b8079658a1
	.section	.bss,"aw",@nobits
	.globl	__hip_cuid_3a257b8079658a1
__hip_cuid_3a257b8079658a1:
	.byte	0                               ; 0x0
	.size	__hip_cuid_3a257b8079658a1, 1

	.ident	"AMD clang version 19.0.0git (https://github.com/RadeonOpenCompute/llvm-project roc-6.4.0 25133 c7fe45cf4b819c5991fe208aaa96edf142730f1d)"
	.section	".note.GNU-stack","",@progbits
	.addrsig
	.addrsig_sym __hip_cuid_3a257b8079658a1
	.amdgpu_metadata
---
amdhsa.kernels:
  - .args:
      - .actual_access:  read_only
        .address_space:  global
        .offset:         0
        .size:           8
        .value_kind:     global_buffer
      - .address_space:  global
        .offset:         8
        .size:           8
        .value_kind:     global_buffer
      - .offset:         16
        .size:           8
        .value_kind:     by_value
      - .actual_access:  read_only
        .address_space:  global
        .offset:         24
        .size:           8
        .value_kind:     global_buffer
      - .actual_access:  read_only
        .address_space:  global
        .offset:         32
        .size:           8
        .value_kind:     global_buffer
      - .offset:         40
        .size:           8
        .value_kind:     by_value
      - .actual_access:  read_only
        .address_space:  global
        .offset:         48
        .size:           8
        .value_kind:     global_buffer
      - .actual_access:  read_only
        .address_space:  global
        .offset:         56
        .size:           8
        .value_kind:     global_buffer
      - .offset:         64
        .size:           4
        .value_kind:     by_value
      - .actual_access:  read_only
        .address_space:  global
        .offset:         72
        .size:           8
        .value_kind:     global_buffer
      - .actual_access:  read_only
        .address_space:  global
        .offset:         80
        .size:           8
        .value_kind:     global_buffer
      - .address_space:  global
        .offset:         88
        .size:           8
        .value_kind:     global_buffer
    .group_segment_fixed_size: 0
    .kernarg_segment_align: 8
    .kernarg_segment_size: 96
    .language:       OpenCL C
    .language_version:
      - 2
      - 0
    .max_flat_workgroup_size: 256
    .name:           fft_rtc_fwd_len96_factors_8_3_4_wgs_256_tpt_32_dp_ip_CI_sbcc
    .private_segment_fixed_size: 0
    .sgpr_count:     45
    .sgpr_spill_count: 0
    .symbol:         fft_rtc_fwd_len96_factors_8_3_4_wgs_256_tpt_32_dp_ip_CI_sbcc.kd
    .uniform_work_group_size: 1
    .uses_dynamic_stack: false
    .vgpr_count:     60
    .vgpr_spill_count: 0
    .wavefront_size: 64
amdhsa.target:   amdgcn-amd-amdhsa--gfx906
amdhsa.version:
  - 1
  - 2
...

	.end_amdgpu_metadata
